;; amdgpu-corpus repo=ROCm/rocFFT kind=compiled arch=gfx1201 opt=O3
	.text
	.amdgcn_target "amdgcn-amd-amdhsa--gfx1201"
	.amdhsa_code_object_version 6
	.protected	bluestein_single_fwd_len256_dim1_dp_op_CI_CI ; -- Begin function bluestein_single_fwd_len256_dim1_dp_op_CI_CI
	.globl	bluestein_single_fwd_len256_dim1_dp_op_CI_CI
	.p2align	8
	.type	bluestein_single_fwd_len256_dim1_dp_op_CI_CI,@function
bluestein_single_fwd_len256_dim1_dp_op_CI_CI: ; @bluestein_single_fwd_len256_dim1_dp_op_CI_CI
; %bb.0:
	s_load_b128 s[16:19], s[0:1], 0x28
	s_mov_b32 s2, ttmp9
	s_mov_b32 s3, 0
	s_mov_b32 s5, exec_lo
	s_wait_kmcnt 0x0
	v_cmpx_lt_u64_e64 s[2:3], s[16:17]
	s_cbranch_execz .LBB0_2
; %bb.1:
	s_clause 0x1
	s_load_b128 s[4:7], s[0:1], 0x18
	s_load_b128 s[8:11], s[0:1], 0x0
	v_dual_mov_b32 v54, s3 :: v_dual_mov_b32 v53, s2
	v_lshlrev_b32_e32 v54, 4, v0
	v_and_b32_e32 v56, 3, v0
	v_lshlrev_b32_e32 v70, 2, v0
	s_load_b64 s[0:1], s[0:1], 0x38
	v_lshlrev_b32_e32 v55, 6, v0
	s_wait_kmcnt 0x0
	s_load_b128 s[12:15], s[4:5], 0x0
	s_wait_kmcnt 0x0
	v_mad_co_u64_u32 v[1:2], null, s14, v53, 0
	v_mad_co_u64_u32 v[3:4], null, s12, v0, 0
	s_lshl_b64 s[2:3], s[12:13], 10
	s_delay_alu instid0(VALU_DEP_1) | instskip(NEXT) | instid1(VALU_DEP_1)
	v_mad_co_u64_u32 v[5:6], null, s15, v53, v[2:3]
	v_mad_co_u64_u32 v[6:7], null, s13, v0, v[4:5]
	v_mov_b32_e32 v2, v5
	s_delay_alu instid0(VALU_DEP_1) | instskip(NEXT) | instid1(VALU_DEP_3)
	v_lshlrev_b64_e32 v[1:2], 4, v[1:2]
	v_mov_b32_e32 v4, v6
	s_delay_alu instid0(VALU_DEP_2) | instskip(NEXT) | instid1(VALU_DEP_2)
	v_add_co_u32 v1, vcc_lo, s18, v1
	v_lshlrev_b64_e32 v[3:4], 4, v[3:4]
	s_delay_alu instid0(VALU_DEP_4) | instskip(NEXT) | instid1(VALU_DEP_2)
	v_add_co_ci_u32_e32 v2, vcc_lo, s19, v2, vcc_lo
	v_add_co_u32 v9, vcc_lo, v1, v3
	s_wait_alu 0xfffd
	s_delay_alu instid0(VALU_DEP_2)
	v_add_co_ci_u32_e32 v10, vcc_lo, v2, v4, vcc_lo
	s_clause 0x1
	global_load_b128 v[1:4], v54, s[8:9]
	global_load_b128 v[5:8], v54, s[8:9] offset:1024
	s_wait_alu 0xfffe
	v_add_co_u32 v11, vcc_lo, v9, s2
	s_wait_alu 0xfffd
	v_add_co_ci_u32_e32 v12, vcc_lo, s3, v10, vcc_lo
	global_load_b128 v[17:20], v[9:10], off
	v_add_co_u32 v13, vcc_lo, v11, s2
	s_wait_alu 0xfffd
	v_add_co_ci_u32_e32 v14, vcc_lo, s3, v12, vcc_lo
	s_delay_alu instid0(VALU_DEP_2) | instskip(SKIP_1) | instid1(VALU_DEP_2)
	v_add_co_u32 v29, vcc_lo, v13, s2
	s_wait_alu 0xfffd
	v_add_co_ci_u32_e32 v30, vcc_lo, s3, v14, vcc_lo
	s_clause 0x1
	global_load_b128 v[21:24], v[11:12], off
	global_load_b128 v[25:28], v[13:14], off
	s_clause 0x1
	global_load_b128 v[9:12], v54, s[8:9] offset:2048
	global_load_b128 v[13:16], v54, s[8:9] offset:3072
	global_load_b128 v[29:32], v[29:30], off
	s_load_b128 s[4:7], s[6:7], 0x0
	s_add_nc_u64 s[2:3], s[8:9], 0x1000
	s_wait_loadcnt 0x5
	v_mul_f64_e32 v[33:34], v[19:20], v[3:4]
	v_mul_f64_e32 v[35:36], v[17:18], v[3:4]
	s_wait_loadcnt 0x4
	v_mul_f64_e32 v[37:38], v[23:24], v[7:8]
	v_mul_f64_e32 v[39:40], v[21:22], v[7:8]
	;; [unrolled: 3-line block ×4, first 2 shown]
	v_fma_f64 v[17:18], v[17:18], v[1:2], v[33:34]
	v_fma_f64 v[19:20], v[19:20], v[1:2], -v[35:36]
	v_fma_f64 v[21:22], v[21:22], v[5:6], v[37:38]
	v_fma_f64 v[23:24], v[23:24], v[5:6], -v[39:40]
	;; [unrolled: 2-line block ×4, first 2 shown]
	ds_store_b128 v54, v[17:20]
	ds_store_b128 v54, v[21:24] offset:1024
	ds_store_b128 v54, v[25:28] offset:2048
	;; [unrolled: 1-line block ×3, first 2 shown]
	global_wb scope:SCOPE_SE
	s_wait_dscnt 0x0
	s_wait_kmcnt 0x0
	s_barrier_signal -1
	s_barrier_wait -1
	global_inv scope:SCOPE_SE
	ds_load_b128 v[17:20], v54 offset:2048
	ds_load_b128 v[21:24], v54
	ds_load_b128 v[25:28], v54 offset:1024
	ds_load_b128 v[29:32], v54 offset:3072
	global_wb scope:SCOPE_SE
	s_wait_dscnt 0x0
	s_barrier_signal -1
	s_barrier_wait -1
	global_inv scope:SCOPE_SE
	v_add_f64_e64 v[33:34], v[21:22], -v[17:18]
	v_add_f64_e64 v[35:36], v[23:24], -v[19:20]
	v_add_f64_e64 v[19:20], v[25:26], -v[29:30]
	v_add_f64_e64 v[17:18], v[27:28], -v[31:32]
	s_delay_alu instid0(VALU_DEP_4) | instskip(NEXT) | instid1(VALU_DEP_4)
	v_fma_f64 v[29:30], v[21:22], 2.0, -v[33:34]
	v_fma_f64 v[31:32], v[23:24], 2.0, -v[35:36]
	s_delay_alu instid0(VALU_DEP_4) | instskip(NEXT) | instid1(VALU_DEP_4)
	v_fma_f64 v[21:22], v[25:26], 2.0, -v[19:20]
	v_fma_f64 v[23:24], v[27:28], 2.0, -v[17:18]
	v_add_f64_e64 v[17:18], v[33:34], -v[17:18]
	v_add_f64_e32 v[19:20], v[35:36], v[19:20]
	s_delay_alu instid0(VALU_DEP_4) | instskip(NEXT) | instid1(VALU_DEP_4)
	v_add_f64_e64 v[21:22], v[29:30], -v[21:22]
	v_add_f64_e64 v[23:24], v[31:32], -v[23:24]
	s_delay_alu instid0(VALU_DEP_4) | instskip(NEXT) | instid1(VALU_DEP_4)
	v_fma_f64 v[25:26], v[33:34], 2.0, -v[17:18]
	v_fma_f64 v[27:28], v[35:36], 2.0, -v[19:20]
	v_mad_co_u64_u32 v[33:34], null, v56, 48, s[10:11]
	v_fma_f64 v[29:30], v[29:30], 2.0, -v[21:22]
	v_fma_f64 v[31:32], v[31:32], 2.0, -v[23:24]
	ds_store_b128 v55, v[21:24] offset:32
	ds_store_b128 v55, v[17:20] offset:48
	ds_store_b128 v55, v[29:32]
	ds_store_b128 v55, v[25:28] offset:16
	global_wb scope:SCOPE_SE
	s_wait_dscnt 0x0
	s_barrier_signal -1
	s_barrier_wait -1
	global_inv scope:SCOPE_SE
	s_clause 0x2
	global_load_b128 v[25:28], v[33:34], off
	global_load_b128 v[21:24], v[33:34], off offset:16
	global_load_b128 v[17:20], v[33:34], off offset:32
	ds_load_b128 v[29:32], v54 offset:1024
	ds_load_b128 v[33:36], v54 offset:2048
	;; [unrolled: 1-line block ×3, first 2 shown]
	s_wait_loadcnt_dscnt 0x202
	v_mul_f64_e32 v[41:42], v[31:32], v[27:28]
	v_mul_f64_e32 v[43:44], v[29:30], v[27:28]
	s_wait_loadcnt_dscnt 0x101
	v_mul_f64_e32 v[45:46], v[35:36], v[23:24]
	v_mul_f64_e32 v[47:48], v[33:34], v[23:24]
	;; [unrolled: 3-line block ×3, first 2 shown]
	v_fma_f64 v[41:42], v[29:30], v[25:26], -v[41:42]
	v_fma_f64 v[43:44], v[31:32], v[25:26], v[43:44]
	v_fma_f64 v[33:34], v[33:34], v[21:22], -v[45:46]
	v_fma_f64 v[35:36], v[35:36], v[21:22], v[47:48]
	;; [unrolled: 2-line block ×3, first 2 shown]
	ds_load_b128 v[29:32], v54
	global_wb scope:SCOPE_SE
	s_wait_dscnt 0x0
	s_barrier_signal -1
	s_barrier_wait -1
	global_inv scope:SCOPE_SE
	v_add_f64_e64 v[45:46], v[29:30], -v[33:34]
	v_add_f64_e64 v[47:48], v[31:32], -v[35:36]
	;; [unrolled: 1-line block ×4, first 2 shown]
	s_delay_alu instid0(VALU_DEP_4) | instskip(NEXT) | instid1(VALU_DEP_4)
	v_fma_f64 v[39:40], v[29:30], 2.0, -v[45:46]
	v_fma_f64 v[49:50], v[31:32], 2.0, -v[47:48]
	s_delay_alu instid0(VALU_DEP_4) | instskip(NEXT) | instid1(VALU_DEP_4)
	v_fma_f64 v[31:32], v[41:42], 2.0, -v[37:38]
	v_fma_f64 v[35:36], v[43:44], 2.0, -v[33:34]
	v_add_f64_e64 v[29:30], v[45:46], -v[33:34]
	s_delay_alu instid0(VALU_DEP_3) | instskip(NEXT) | instid1(VALU_DEP_3)
	v_add_f64_e64 v[33:34], v[39:40], -v[31:32]
	v_add_f64_e64 v[35:36], v[49:50], -v[35:36]
	v_add_f64_e32 v[31:32], v[47:48], v[37:38]
	s_delay_alu instid0(VALU_DEP_4) | instskip(SKIP_2) | instid1(VALU_DEP_2)
	v_fma_f64 v[37:38], v[45:46], 2.0, -v[29:30]
	v_and_or_b32 v45, 0xf0, v70, v56
	v_and_b32_e32 v56, 15, v0
	v_lshlrev_b32_e32 v57, 4, v45
	s_delay_alu instid0(VALU_DEP_2) | instskip(SKIP_1) | instid1(VALU_DEP_1)
	v_mad_co_u64_u32 v[45:46], null, v56, 48, s[10:11]
	v_and_or_b32 v56, 0xc0, v70, v56
	v_lshlrev_b32_e32 v56, 4, v56
	v_fma_f64 v[41:42], v[39:40], 2.0, -v[33:34]
	v_fma_f64 v[43:44], v[49:50], 2.0, -v[35:36]
	;; [unrolled: 1-line block ×3, first 2 shown]
	ds_store_b128 v57, v[33:36] offset:128
	ds_store_b128 v57, v[29:32] offset:192
	ds_store_b128 v57, v[41:44]
	ds_store_b128 v57, v[37:40] offset:64
	global_wb scope:SCOPE_SE
	s_wait_dscnt 0x0
	s_barrier_signal -1
	s_barrier_wait -1
	global_inv scope:SCOPE_SE
	s_clause 0x2
	global_load_b128 v[37:40], v[45:46], off offset:192
	global_load_b128 v[33:36], v[45:46], off offset:208
	;; [unrolled: 1-line block ×3, first 2 shown]
	ds_load_b128 v[41:44], v54 offset:1024
	ds_load_b128 v[45:48], v54 offset:2048
	ds_load_b128 v[49:52], v54 offset:3072
	s_wait_loadcnt_dscnt 0x202
	v_mul_f64_e32 v[58:59], v[43:44], v[39:40]
	v_mul_f64_e32 v[60:61], v[41:42], v[39:40]
	s_wait_loadcnt_dscnt 0x101
	v_mul_f64_e32 v[62:63], v[47:48], v[35:36]
	v_mul_f64_e32 v[64:65], v[45:46], v[35:36]
	;; [unrolled: 3-line block ×3, first 2 shown]
	v_fma_f64 v[58:59], v[41:42], v[37:38], -v[58:59]
	v_fma_f64 v[60:61], v[43:44], v[37:38], v[60:61]
	v_fma_f64 v[45:46], v[45:46], v[33:34], -v[62:63]
	v_fma_f64 v[47:48], v[47:48], v[33:34], v[64:65]
	;; [unrolled: 2-line block ×3, first 2 shown]
	ds_load_b128 v[41:44], v54
	global_wb scope:SCOPE_SE
	s_wait_dscnt 0x0
	s_barrier_signal -1
	s_barrier_wait -1
	global_inv scope:SCOPE_SE
	v_add_f64_e64 v[62:63], v[41:42], -v[45:46]
	v_add_f64_e64 v[64:65], v[43:44], -v[47:48]
	;; [unrolled: 1-line block ×4, first 2 shown]
	s_delay_alu instid0(VALU_DEP_4) | instskip(NEXT) | instid1(VALU_DEP_4)
	v_fma_f64 v[51:52], v[41:42], 2.0, -v[62:63]
	v_fma_f64 v[66:67], v[43:44], 2.0, -v[64:65]
	s_delay_alu instid0(VALU_DEP_4) | instskip(NEXT) | instid1(VALU_DEP_4)
	v_fma_f64 v[43:44], v[58:59], 2.0, -v[49:50]
	v_fma_f64 v[47:48], v[60:61], 2.0, -v[45:46]
	v_add_f64_e64 v[41:42], v[62:63], -v[45:46]
	s_delay_alu instid0(VALU_DEP_3) | instskip(NEXT) | instid1(VALU_DEP_3)
	v_add_f64_e64 v[45:46], v[51:52], -v[43:44]
	v_add_f64_e64 v[47:48], v[66:67], -v[47:48]
	v_add_f64_e32 v[43:44], v[64:65], v[49:50]
	s_delay_alu instid0(VALU_DEP_4)
	v_fma_f64 v[49:50], v[62:63], 2.0, -v[41:42]
	v_mad_co_u64_u32 v[62:63], null, v0, 48, s[10:11]
	v_fma_f64 v[58:59], v[51:52], 2.0, -v[45:46]
	v_fma_f64 v[60:61], v[66:67], 2.0, -v[47:48]
	v_fma_f64 v[51:52], v[64:65], 2.0, -v[43:44]
	ds_store_b128 v56, v[45:48] offset:512
	ds_store_b128 v56, v[41:44] offset:768
	ds_store_b128 v56, v[58:61]
	ds_store_b128 v56, v[49:52] offset:256
	global_wb scope:SCOPE_SE
	s_wait_dscnt 0x0
	s_barrier_signal -1
	s_barrier_wait -1
	global_inv scope:SCOPE_SE
	s_clause 0x2
	global_load_b128 v[49:52], v[62:63], off offset:960
	global_load_b128 v[45:48], v[62:63], off offset:976
	;; [unrolled: 1-line block ×3, first 2 shown]
	ds_load_b128 v[58:61], v54 offset:1024
	ds_load_b128 v[62:65], v54 offset:2048
	;; [unrolled: 1-line block ×3, first 2 shown]
	s_wait_loadcnt_dscnt 0x202
	v_mul_f64_e32 v[70:71], v[60:61], v[51:52]
	v_mul_f64_e32 v[72:73], v[58:59], v[51:52]
	s_wait_loadcnt_dscnt 0x101
	v_mul_f64_e32 v[74:75], v[64:65], v[47:48]
	v_mul_f64_e32 v[76:77], v[62:63], v[47:48]
	;; [unrolled: 3-line block ×3, first 2 shown]
	v_fma_f64 v[70:71], v[58:59], v[49:50], -v[70:71]
	v_fma_f64 v[72:73], v[60:61], v[49:50], v[72:73]
	v_fma_f64 v[62:63], v[62:63], v[45:46], -v[74:75]
	v_fma_f64 v[64:65], v[64:65], v[45:46], v[76:77]
	;; [unrolled: 2-line block ×3, first 2 shown]
	ds_load_b128 v[58:61], v54
	s_wait_dscnt 0x0
	v_add_f64_e64 v[74:75], v[58:59], -v[62:63]
	v_add_f64_e64 v[76:77], v[60:61], -v[64:65]
	;; [unrolled: 1-line block ×4, first 2 shown]
	s_delay_alu instid0(VALU_DEP_4) | instskip(NEXT) | instid1(VALU_DEP_4)
	v_fma_f64 v[68:69], v[58:59], 2.0, -v[74:75]
	v_fma_f64 v[78:79], v[60:61], 2.0, -v[76:77]
	s_delay_alu instid0(VALU_DEP_4) | instskip(NEXT) | instid1(VALU_DEP_4)
	v_fma_f64 v[60:61], v[70:71], 2.0, -v[66:67]
	v_fma_f64 v[64:65], v[72:73], 2.0, -v[62:63]
	v_add_f64_e64 v[58:59], v[74:75], -v[62:63]
	s_delay_alu instid0(VALU_DEP_3) | instskip(NEXT) | instid1(VALU_DEP_3)
	v_add_f64_e64 v[62:63], v[68:69], -v[60:61]
	v_add_f64_e64 v[64:65], v[78:79], -v[64:65]
	v_add_f64_e32 v[60:61], v[76:77], v[66:67]
	s_delay_alu instid0(VALU_DEP_4) | instskip(NEXT) | instid1(VALU_DEP_4)
	v_fma_f64 v[66:67], v[74:75], 2.0, -v[58:59]
	v_fma_f64 v[70:71], v[68:69], 2.0, -v[62:63]
	s_delay_alu instid0(VALU_DEP_4) | instskip(NEXT) | instid1(VALU_DEP_4)
	v_fma_f64 v[72:73], v[78:79], 2.0, -v[64:65]
	v_fma_f64 v[68:69], v[76:77], 2.0, -v[60:61]
	ds_store_b128 v54, v[62:65] offset:2048
	ds_store_b128 v54, v[58:61] offset:3072
	ds_store_b128 v54, v[70:73]
	ds_store_b128 v54, v[66:69] offset:1024
	global_wb scope:SCOPE_SE
	s_wait_dscnt 0x0
	s_barrier_signal -1
	s_barrier_wait -1
	global_inv scope:SCOPE_SE
	s_clause 0x3
	global_load_b128 v[58:61], v54, s[8:9] offset:4096
	global_load_b128 v[62:65], v54, s[2:3] offset:1024
	;; [unrolled: 1-line block ×4, first 2 shown]
	ds_load_b128 v[74:77], v54
	ds_load_b128 v[78:81], v54 offset:1024
	s_wait_loadcnt_dscnt 0x200
	v_mul_f64_e32 v[84:85], v[80:81], v[64:65]
	v_mul_f64_e32 v[82:83], v[76:77], v[60:61]
	v_mul_f64_e32 v[60:61], v[74:75], v[60:61]
	v_mul_f64_e32 v[64:65], v[78:79], v[64:65]
	s_delay_alu instid0(VALU_DEP_4) | instskip(NEXT) | instid1(VALU_DEP_4)
	v_fma_f64 v[78:79], v[78:79], v[62:63], -v[84:85]
	v_fma_f64 v[74:75], v[74:75], v[58:59], -v[82:83]
	s_delay_alu instid0(VALU_DEP_4)
	v_fma_f64 v[76:77], v[76:77], v[58:59], v[60:61]
	ds_load_b128 v[58:61], v54 offset:2048
	v_fma_f64 v[80:81], v[80:81], v[62:63], v[64:65]
	ds_load_b128 v[62:65], v54 offset:3072
	s_wait_loadcnt_dscnt 0x101
	v_mul_f64_e32 v[82:83], v[60:61], v[68:69]
	v_mul_f64_e32 v[68:69], v[58:59], v[68:69]
	s_wait_loadcnt_dscnt 0x0
	v_mul_f64_e32 v[84:85], v[64:65], v[72:73]
	s_delay_alu instid0(VALU_DEP_3) | instskip(NEXT) | instid1(VALU_DEP_3)
	v_fma_f64 v[58:59], v[58:59], v[66:67], -v[82:83]
	v_fma_f64 v[60:61], v[60:61], v[66:67], v[68:69]
	v_mul_f64_e32 v[66:67], v[62:63], v[72:73]
	s_delay_alu instid0(VALU_DEP_4) | instskip(NEXT) | instid1(VALU_DEP_2)
	v_fma_f64 v[62:63], v[62:63], v[70:71], -v[84:85]
	v_fma_f64 v[64:65], v[64:65], v[70:71], v[66:67]
	ds_store_b128 v54, v[74:77]
	ds_store_b128 v54, v[78:81] offset:1024
	ds_store_b128 v54, v[58:61] offset:2048
	;; [unrolled: 1-line block ×3, first 2 shown]
	global_wb scope:SCOPE_SE
	s_wait_dscnt 0x0
	s_barrier_signal -1
	s_barrier_wait -1
	global_inv scope:SCOPE_SE
	ds_load_b128 v[58:61], v54 offset:2048
	ds_load_b128 v[62:65], v54
	ds_load_b128 v[66:69], v54 offset:1024
	ds_load_b128 v[70:73], v54 offset:3072
	global_wb scope:SCOPE_SE
	s_wait_dscnt 0x0
	s_barrier_signal -1
	s_barrier_wait -1
	global_inv scope:SCOPE_SE
	v_add_f64_e64 v[74:75], v[62:63], -v[58:59]
	v_add_f64_e64 v[76:77], v[64:65], -v[60:61]
	;; [unrolled: 1-line block ×4, first 2 shown]
	s_delay_alu instid0(VALU_DEP_4) | instskip(NEXT) | instid1(VALU_DEP_4)
	v_fma_f64 v[70:71], v[62:63], 2.0, -v[74:75]
	v_fma_f64 v[72:73], v[64:65], 2.0, -v[76:77]
	s_delay_alu instid0(VALU_DEP_4) | instskip(NEXT) | instid1(VALU_DEP_4)
	v_fma_f64 v[62:63], v[66:67], 2.0, -v[60:61]
	v_fma_f64 v[64:65], v[68:69], 2.0, -v[58:59]
	v_add_f64_e32 v[58:59], v[74:75], v[58:59]
	v_add_f64_e64 v[60:61], v[76:77], -v[60:61]
	s_delay_alu instid0(VALU_DEP_4) | instskip(NEXT) | instid1(VALU_DEP_4)
	v_add_f64_e64 v[62:63], v[70:71], -v[62:63]
	v_add_f64_e64 v[64:65], v[72:73], -v[64:65]
	s_delay_alu instid0(VALU_DEP_4) | instskip(NEXT) | instid1(VALU_DEP_4)
	v_fma_f64 v[66:67], v[74:75], 2.0, -v[58:59]
	v_fma_f64 v[68:69], v[76:77], 2.0, -v[60:61]
	s_delay_alu instid0(VALU_DEP_4) | instskip(NEXT) | instid1(VALU_DEP_4)
	v_fma_f64 v[70:71], v[70:71], 2.0, -v[62:63]
	v_fma_f64 v[72:73], v[72:73], 2.0, -v[64:65]
	ds_store_b128 v55, v[62:65] offset:32
	ds_store_b128 v55, v[58:61] offset:48
	ds_store_b128 v55, v[70:73]
	ds_store_b128 v55, v[66:69] offset:16
	global_wb scope:SCOPE_SE
	s_wait_dscnt 0x0
	s_barrier_signal -1
	s_barrier_wait -1
	global_inv scope:SCOPE_SE
	ds_load_b128 v[58:61], v54 offset:1024
	ds_load_b128 v[62:65], v54 offset:2048
	;; [unrolled: 1-line block ×3, first 2 shown]
	s_wait_dscnt 0x2
	v_mul_f64_e32 v[70:71], v[27:28], v[60:61]
	v_mul_f64_e32 v[27:28], v[27:28], v[58:59]
	s_wait_dscnt 0x1
	v_mul_f64_e32 v[72:73], v[23:24], v[64:65]
	v_mul_f64_e32 v[23:24], v[23:24], v[62:63]
	;; [unrolled: 3-line block ×3, first 2 shown]
	v_fma_f64 v[58:59], v[25:26], v[58:59], v[70:71]
	v_fma_f64 v[25:26], v[25:26], v[60:61], -v[27:28]
	v_fma_f64 v[27:28], v[21:22], v[62:63], v[72:73]
	v_fma_f64 v[21:22], v[21:22], v[64:65], -v[23:24]
	;; [unrolled: 2-line block ×3, first 2 shown]
	ds_load_b128 v[17:20], v54
	global_wb scope:SCOPE_SE
	s_wait_dscnt 0x0
	s_barrier_signal -1
	s_barrier_wait -1
	global_inv scope:SCOPE_SE
	v_add_f64_e64 v[27:28], v[17:18], -v[27:28]
	v_add_f64_e64 v[62:63], v[19:20], -v[21:22]
	;; [unrolled: 1-line block ×4, first 2 shown]
	s_delay_alu instid0(VALU_DEP_4) | instskip(NEXT) | instid1(VALU_DEP_4)
	v_fma_f64 v[60:61], v[17:18], 2.0, -v[27:28]
	v_fma_f64 v[66:67], v[19:20], 2.0, -v[62:63]
	s_delay_alu instid0(VALU_DEP_4) | instskip(NEXT) | instid1(VALU_DEP_4)
	v_fma_f64 v[19:20], v[58:59], 2.0, -v[64:65]
	v_fma_f64 v[23:24], v[25:26], 2.0, -v[21:22]
	v_add_f64_e32 v[17:18], v[27:28], v[21:22]
	s_delay_alu instid0(VALU_DEP_3) | instskip(NEXT) | instid1(VALU_DEP_3)
	v_add_f64_e64 v[21:22], v[60:61], -v[19:20]
	v_add_f64_e64 v[23:24], v[66:67], -v[23:24]
	;; [unrolled: 1-line block ×3, first 2 shown]
	s_delay_alu instid0(VALU_DEP_4) | instskip(NEXT) | instid1(VALU_DEP_4)
	v_fma_f64 v[25:26], v[27:28], 2.0, -v[17:18]
	v_fma_f64 v[58:59], v[60:61], 2.0, -v[21:22]
	s_delay_alu instid0(VALU_DEP_4) | instskip(NEXT) | instid1(VALU_DEP_4)
	v_fma_f64 v[60:61], v[66:67], 2.0, -v[23:24]
	v_fma_f64 v[27:28], v[62:63], 2.0, -v[19:20]
	ds_store_b128 v57, v[21:24] offset:128
	ds_store_b128 v57, v[17:20] offset:192
	ds_store_b128 v57, v[58:61]
	ds_store_b128 v57, v[25:28] offset:64
	global_wb scope:SCOPE_SE
	s_wait_dscnt 0x0
	s_barrier_signal -1
	s_barrier_wait -1
	global_inv scope:SCOPE_SE
	ds_load_b128 v[17:20], v54 offset:1024
	ds_load_b128 v[21:24], v54 offset:2048
	;; [unrolled: 1-line block ×3, first 2 shown]
	s_wait_dscnt 0x2
	v_mul_f64_e32 v[57:58], v[39:40], v[19:20]
	v_mul_f64_e32 v[39:40], v[39:40], v[17:18]
	s_wait_dscnt 0x1
	v_mul_f64_e32 v[59:60], v[35:36], v[23:24]
	v_mul_f64_e32 v[35:36], v[35:36], v[21:22]
	;; [unrolled: 3-line block ×3, first 2 shown]
	v_fma_f64 v[57:58], v[37:38], v[17:18], v[57:58]
	v_fma_f64 v[37:38], v[37:38], v[19:20], -v[39:40]
	v_fma_f64 v[21:22], v[33:34], v[21:22], v[59:60]
	v_fma_f64 v[23:24], v[33:34], v[23:24], -v[35:36]
	;; [unrolled: 2-line block ×3, first 2 shown]
	ds_load_b128 v[17:20], v54
	global_wb scope:SCOPE_SE
	s_wait_dscnt 0x0
	s_barrier_signal -1
	s_barrier_wait -1
	global_inv scope:SCOPE_SE
	v_add_f64_e64 v[29:30], v[17:18], -v[21:22]
	v_add_f64_e64 v[33:34], v[19:20], -v[23:24]
	;; [unrolled: 1-line block ×4, first 2 shown]
	s_delay_alu instid0(VALU_DEP_4) | instskip(NEXT) | instid1(VALU_DEP_4)
	v_fma_f64 v[27:28], v[17:18], 2.0, -v[29:30]
	v_fma_f64 v[31:32], v[19:20], 2.0, -v[33:34]
	s_delay_alu instid0(VALU_DEP_4) | instskip(NEXT) | instid1(VALU_DEP_4)
	v_fma_f64 v[19:20], v[57:58], 2.0, -v[25:26]
	v_fma_f64 v[23:24], v[37:38], 2.0, -v[21:22]
	v_add_f64_e32 v[17:18], v[29:30], v[21:22]
	s_delay_alu instid0(VALU_DEP_3) | instskip(NEXT) | instid1(VALU_DEP_3)
	v_add_f64_e64 v[21:22], v[27:28], -v[19:20]
	v_add_f64_e64 v[23:24], v[31:32], -v[23:24]
	;; [unrolled: 1-line block ×3, first 2 shown]
	s_delay_alu instid0(VALU_DEP_4) | instskip(NEXT) | instid1(VALU_DEP_4)
	v_fma_f64 v[25:26], v[29:30], 2.0, -v[17:18]
	v_fma_f64 v[29:30], v[27:28], 2.0, -v[21:22]
	s_delay_alu instid0(VALU_DEP_4) | instskip(NEXT) | instid1(VALU_DEP_4)
	v_fma_f64 v[31:32], v[31:32], 2.0, -v[23:24]
	v_fma_f64 v[27:28], v[33:34], 2.0, -v[19:20]
	ds_store_b128 v56, v[21:24] offset:512
	ds_store_b128 v56, v[17:20] offset:768
	ds_store_b128 v56, v[29:32]
	ds_store_b128 v56, v[25:28] offset:256
	global_wb scope:SCOPE_SE
	s_wait_dscnt 0x0
	s_barrier_signal -1
	s_barrier_wait -1
	global_inv scope:SCOPE_SE
	ds_load_b128 v[17:20], v54 offset:1024
	ds_load_b128 v[21:24], v54 offset:2048
	;; [unrolled: 1-line block ×3, first 2 shown]
	s_wait_dscnt 0x2
	v_mul_f64_e32 v[29:30], v[51:52], v[19:20]
	v_mul_f64_e32 v[31:32], v[51:52], v[17:18]
	s_wait_dscnt 0x1
	v_mul_f64_e32 v[33:34], v[47:48], v[23:24]
	v_mul_f64_e32 v[35:36], v[47:48], v[21:22]
	;; [unrolled: 3-line block ×3, first 2 shown]
	v_fma_f64 v[29:30], v[49:50], v[17:18], v[29:30]
	v_fma_f64 v[31:32], v[49:50], v[19:20], -v[31:32]
	v_fma_f64 v[21:22], v[45:46], v[21:22], v[33:34]
	v_fma_f64 v[23:24], v[45:46], v[23:24], -v[35:36]
	;; [unrolled: 2-line block ×3, first 2 shown]
	ds_load_b128 v[17:20], v54
	s_wait_dscnt 0x0
	v_add_f64_e64 v[33:34], v[17:18], -v[21:22]
	v_add_f64_e64 v[35:36], v[19:20], -v[23:24]
	;; [unrolled: 1-line block ×4, first 2 shown]
	s_delay_alu instid0(VALU_DEP_4) | instskip(NEXT) | instid1(VALU_DEP_4)
	v_fma_f64 v[27:28], v[17:18], 2.0, -v[33:34]
	v_fma_f64 v[37:38], v[19:20], 2.0, -v[35:36]
	s_delay_alu instid0(VALU_DEP_4) | instskip(NEXT) | instid1(VALU_DEP_4)
	v_fma_f64 v[19:20], v[29:30], 2.0, -v[25:26]
	v_fma_f64 v[23:24], v[31:32], 2.0, -v[21:22]
	v_add_f64_e32 v[17:18], v[33:34], v[21:22]
	s_delay_alu instid0(VALU_DEP_3) | instskip(NEXT) | instid1(VALU_DEP_3)
	v_add_f64_e64 v[21:22], v[27:28], -v[19:20]
	v_add_f64_e64 v[23:24], v[37:38], -v[23:24]
	;; [unrolled: 1-line block ×3, first 2 shown]
	s_delay_alu instid0(VALU_DEP_4) | instskip(NEXT) | instid1(VALU_DEP_4)
	v_fma_f64 v[25:26], v[33:34], 2.0, -v[17:18]
	v_fma_f64 v[29:30], v[27:28], 2.0, -v[21:22]
	s_delay_alu instid0(VALU_DEP_4) | instskip(NEXT) | instid1(VALU_DEP_4)
	v_fma_f64 v[31:32], v[37:38], 2.0, -v[23:24]
	v_fma_f64 v[27:28], v[35:36], 2.0, -v[19:20]
	ds_store_b128 v54, v[21:24] offset:2048
	ds_store_b128 v54, v[17:20] offset:3072
	ds_store_b128 v54, v[29:32]
	ds_store_b128 v54, v[25:28] offset:1024
	global_wb scope:SCOPE_SE
	s_wait_dscnt 0x0
	s_barrier_signal -1
	s_barrier_wait -1
	global_inv scope:SCOPE_SE
	ds_load_b128 v[17:20], v54
	ds_load_b128 v[21:24], v54 offset:1024
	ds_load_b128 v[25:28], v54 offset:2048
	;; [unrolled: 1-line block ×3, first 2 shown]
	s_wait_dscnt 0x3
	v_mul_f64_e32 v[33:34], v[3:4], v[19:20]
	v_mul_f64_e32 v[3:4], v[3:4], v[17:18]
	s_wait_dscnt 0x2
	v_mul_f64_e32 v[35:36], v[7:8], v[23:24]
	v_mul_f64_e32 v[7:8], v[7:8], v[21:22]
	;; [unrolled: 3-line block ×4, first 2 shown]
	v_fma_f64 v[17:18], v[1:2], v[17:18], v[33:34]
	v_fma_f64 v[2:3], v[1:2], v[19:20], -v[3:4]
	v_fma_f64 v[19:20], v[5:6], v[21:22], v[35:36]
	v_fma_f64 v[6:7], v[5:6], v[23:24], -v[7:8]
	v_fma_f64 v[21:22], v[9:10], v[25:26], v[37:38]
	v_fma_f64 v[10:11], v[9:10], v[27:28], -v[11:12]
	v_fma_f64 v[23:24], v[13:14], v[29:30], v[39:40]
	v_fma_f64 v[14:15], v[13:14], v[31:32], -v[15:16]
	v_mad_co_u64_u32 v[25:26], null, s6, v53, 0
	v_mad_co_u64_u32 v[27:28], null, s4, v0, 0
	s_delay_alu instid0(VALU_DEP_1) | instskip(NEXT) | instid1(VALU_DEP_1)
	v_dual_mov_b32 v1, v26 :: v_dual_mov_b32 v4, v28
	v_mad_co_u64_u32 v[28:29], null, s7, v53, v[1:2]
	s_delay_alu instid0(VALU_DEP_2)
	v_mad_co_u64_u32 v[29:30], null, s5, v0, v[4:5]
	v_ldexp_f64 v[0:1], v[17:18], -8
	v_ldexp_f64 v[2:3], v[2:3], -8
	;; [unrolled: 1-line block ×8, first 2 shown]
	v_mov_b32_e32 v26, v28
	v_mov_b32_e32 v28, v29
	s_delay_alu instid0(VALU_DEP_2) | instskip(NEXT) | instid1(VALU_DEP_2)
	v_lshlrev_b64_e32 v[16:17], 4, v[25:26]
	v_lshlrev_b64_e32 v[18:19], 4, v[27:28]
	s_delay_alu instid0(VALU_DEP_2) | instskip(SKIP_1) | instid1(VALU_DEP_3)
	v_add_co_u32 v16, vcc_lo, s0, v16
	s_wait_alu 0xfffd
	v_add_co_ci_u32_e32 v17, vcc_lo, s1, v17, vcc_lo
	s_lshl_b64 s[0:1], s[4:5], 10
	s_delay_alu instid0(VALU_DEP_2) | instskip(SKIP_1) | instid1(VALU_DEP_2)
	v_add_co_u32 v16, vcc_lo, v16, v18
	s_wait_alu 0xfffd
	v_add_co_ci_u32_e32 v17, vcc_lo, v17, v19, vcc_lo
	s_wait_alu 0xfffe
	s_delay_alu instid0(VALU_DEP_2) | instskip(SKIP_1) | instid1(VALU_DEP_2)
	v_add_co_u32 v18, vcc_lo, v16, s0
	s_wait_alu 0xfffd
	v_add_co_ci_u32_e32 v19, vcc_lo, s1, v17, vcc_lo
	s_delay_alu instid0(VALU_DEP_2) | instskip(SKIP_1) | instid1(VALU_DEP_2)
	v_add_co_u32 v20, vcc_lo, v18, s0
	s_wait_alu 0xfffd
	v_add_co_ci_u32_e32 v21, vcc_lo, s1, v19, vcc_lo
	;; [unrolled: 4-line block ×3, first 2 shown]
	s_clause 0x3
	global_store_b128 v[16:17], v[0:3], off
	global_store_b128 v[18:19], v[4:7], off
	;; [unrolled: 1-line block ×4, first 2 shown]
.LBB0_2:
	s_nop 0
	s_sendmsg sendmsg(MSG_DEALLOC_VGPRS)
	s_endpgm
	.section	.rodata,"a",@progbits
	.p2align	6, 0x0
	.amdhsa_kernel bluestein_single_fwd_len256_dim1_dp_op_CI_CI
		.amdhsa_group_segment_fixed_size 4096
		.amdhsa_private_segment_fixed_size 0
		.amdhsa_kernarg_size 104
		.amdhsa_user_sgpr_count 2
		.amdhsa_user_sgpr_dispatch_ptr 0
		.amdhsa_user_sgpr_queue_ptr 0
		.amdhsa_user_sgpr_kernarg_segment_ptr 1
		.amdhsa_user_sgpr_dispatch_id 0
		.amdhsa_user_sgpr_private_segment_size 0
		.amdhsa_wavefront_size32 1
		.amdhsa_uses_dynamic_stack 0
		.amdhsa_enable_private_segment 0
		.amdhsa_system_sgpr_workgroup_id_x 1
		.amdhsa_system_sgpr_workgroup_id_y 0
		.amdhsa_system_sgpr_workgroup_id_z 0
		.amdhsa_system_sgpr_workgroup_info 0
		.amdhsa_system_vgpr_workitem_id 0
		.amdhsa_next_free_vgpr 86
		.amdhsa_next_free_sgpr 20
		.amdhsa_reserve_vcc 1
		.amdhsa_float_round_mode_32 0
		.amdhsa_float_round_mode_16_64 0
		.amdhsa_float_denorm_mode_32 3
		.amdhsa_float_denorm_mode_16_64 3
		.amdhsa_fp16_overflow 0
		.amdhsa_workgroup_processor_mode 1
		.amdhsa_memory_ordered 1
		.amdhsa_forward_progress 0
		.amdhsa_round_robin_scheduling 0
		.amdhsa_exception_fp_ieee_invalid_op 0
		.amdhsa_exception_fp_denorm_src 0
		.amdhsa_exception_fp_ieee_div_zero 0
		.amdhsa_exception_fp_ieee_overflow 0
		.amdhsa_exception_fp_ieee_underflow 0
		.amdhsa_exception_fp_ieee_inexact 0
		.amdhsa_exception_int_div_zero 0
	.end_amdhsa_kernel
	.text
.Lfunc_end0:
	.size	bluestein_single_fwd_len256_dim1_dp_op_CI_CI, .Lfunc_end0-bluestein_single_fwd_len256_dim1_dp_op_CI_CI
                                        ; -- End function
	.section	.AMDGPU.csdata,"",@progbits
; Kernel info:
; codeLenInByte = 4144
; NumSgprs: 22
; NumVgprs: 86
; ScratchSize: 0
; MemoryBound: 0
; FloatMode: 240
; IeeeMode: 1
; LDSByteSize: 4096 bytes/workgroup (compile time only)
; SGPRBlocks: 2
; VGPRBlocks: 10
; NumSGPRsForWavesPerEU: 22
; NumVGPRsForWavesPerEU: 86
; Occupancy: 16
; WaveLimiterHint : 1
; COMPUTE_PGM_RSRC2:SCRATCH_EN: 0
; COMPUTE_PGM_RSRC2:USER_SGPR: 2
; COMPUTE_PGM_RSRC2:TRAP_HANDLER: 0
; COMPUTE_PGM_RSRC2:TGID_X_EN: 1
; COMPUTE_PGM_RSRC2:TGID_Y_EN: 0
; COMPUTE_PGM_RSRC2:TGID_Z_EN: 0
; COMPUTE_PGM_RSRC2:TIDIG_COMP_CNT: 0
	.text
	.p2alignl 7, 3214868480
	.fill 96, 4, 3214868480
	.type	__hip_cuid_1b0b78010a4264e,@object ; @__hip_cuid_1b0b78010a4264e
	.section	.bss,"aw",@nobits
	.globl	__hip_cuid_1b0b78010a4264e
__hip_cuid_1b0b78010a4264e:
	.byte	0                               ; 0x0
	.size	__hip_cuid_1b0b78010a4264e, 1

	.ident	"AMD clang version 19.0.0git (https://github.com/RadeonOpenCompute/llvm-project roc-6.4.0 25133 c7fe45cf4b819c5991fe208aaa96edf142730f1d)"
	.section	".note.GNU-stack","",@progbits
	.addrsig
	.addrsig_sym __hip_cuid_1b0b78010a4264e
	.amdgpu_metadata
---
amdhsa.kernels:
  - .args:
      - .actual_access:  read_only
        .address_space:  global
        .offset:         0
        .size:           8
        .value_kind:     global_buffer
      - .actual_access:  read_only
        .address_space:  global
        .offset:         8
        .size:           8
        .value_kind:     global_buffer
      - .actual_access:  read_only
        .address_space:  global
        .offset:         16
        .size:           8
        .value_kind:     global_buffer
      - .actual_access:  read_only
        .address_space:  global
        .offset:         24
        .size:           8
        .value_kind:     global_buffer
      - .actual_access:  read_only
        .address_space:  global
        .offset:         32
        .size:           8
        .value_kind:     global_buffer
      - .offset:         40
        .size:           8
        .value_kind:     by_value
      - .address_space:  global
        .offset:         48
        .size:           8
        .value_kind:     global_buffer
      - .address_space:  global
        .offset:         56
        .size:           8
        .value_kind:     global_buffer
      - .address_space:  global
        .offset:         64
        .size:           8
        .value_kind:     global_buffer
      - .address_space:  global
        .offset:         72
        .size:           8
        .value_kind:     global_buffer
      - .offset:         80
        .size:           4
        .value_kind:     by_value
      - .address_space:  global
        .offset:         88
        .size:           8
        .value_kind:     global_buffer
      - .address_space:  global
        .offset:         96
        .size:           8
        .value_kind:     global_buffer
    .group_segment_fixed_size: 4096
    .kernarg_segment_align: 8
    .kernarg_segment_size: 104
    .language:       OpenCL C
    .language_version:
      - 2
      - 0
    .max_flat_workgroup_size: 64
    .name:           bluestein_single_fwd_len256_dim1_dp_op_CI_CI
    .private_segment_fixed_size: 0
    .sgpr_count:     22
    .sgpr_spill_count: 0
    .symbol:         bluestein_single_fwd_len256_dim1_dp_op_CI_CI.kd
    .uniform_work_group_size: 1
    .uses_dynamic_stack: false
    .vgpr_count:     86
    .vgpr_spill_count: 0
    .wavefront_size: 32
    .workgroup_processor_mode: 1
amdhsa.target:   amdgcn-amd-amdhsa--gfx1201
amdhsa.version:
  - 1
  - 2
...

	.end_amdgpu_metadata
